;; amdgpu-corpus repo=ROCm/rocFFT kind=compiled arch=gfx1030 opt=O3
	.text
	.amdgcn_target "amdgcn-amd-amdhsa--gfx1030"
	.amdhsa_code_object_version 6
	.protected	fft_rtc_fwd_len72_factors_3_3_8_wgs_64_tpt_8_halfLds_dim1_sp_op_CI_CI_unitstride_sbrr_R2C_dirReg ; -- Begin function fft_rtc_fwd_len72_factors_3_3_8_wgs_64_tpt_8_halfLds_dim1_sp_op_CI_CI_unitstride_sbrr_R2C_dirReg
	.globl	fft_rtc_fwd_len72_factors_3_3_8_wgs_64_tpt_8_halfLds_dim1_sp_op_CI_CI_unitstride_sbrr_R2C_dirReg
	.p2align	8
	.type	fft_rtc_fwd_len72_factors_3_3_8_wgs_64_tpt_8_halfLds_dim1_sp_op_CI_CI_unitstride_sbrr_R2C_dirReg,@function
fft_rtc_fwd_len72_factors_3_3_8_wgs_64_tpt_8_halfLds_dim1_sp_op_CI_CI_unitstride_sbrr_R2C_dirReg: ; @fft_rtc_fwd_len72_factors_3_3_8_wgs_64_tpt_8_halfLds_dim1_sp_op_CI_CI_unitstride_sbrr_R2C_dirReg
; %bb.0:
	s_clause 0x1
	s_load_dwordx2 s[0:1], s[4:5], 0x20
	s_load_dwordx2 s[8:9], s[4:5], 0x0
	v_lshrrev_b32_e32 v1, 3, v0
	v_mov_b32_e32 v27, 0
	v_and_b32_e32 v24, 7, v0
                                        ; implicit-def: $vgpr29
	v_lshl_or_b32 v26, s6, 3, v1
	s_waitcnt lgkmcnt(0)
	v_cmp_gt_u64_e32 vcc_lo, s[0:1], v[26:27]
	v_cmp_le_u64_e64 s0, s[0:1], v[26:27]
                                        ; implicit-def: $vgpr27
	s_and_saveexec_b32 s1, s0
	s_xor_b32 s0, exec_lo, s1
; %bb.1:
	v_and_b32_e32 v24, 7, v0
	v_or_b32_e32 v29, 8, v24
	v_or_b32_e32 v27, 16, v24
; %bb.2:
	s_or_saveexec_b32 s1, s0
	s_load_dwordx2 s[2:3], s[4:5], 0x18
	v_mul_u32_u24_e32 v0, 0x49, v1
	v_lshlrev_b32_e32 v0, 3, v0
	s_xor_b32 exec_lo, exec_lo, s1
	s_cbranch_execz .LBB0_4
; %bb.3:
	s_clause 0x1
	s_load_dwordx2 s[6:7], s[4:5], 0x10
	s_load_dwordx2 s[10:11], s[4:5], 0x50
	v_lshlrev_b32_e32 v19, 3, v24
	v_or_b32_e32 v29, 8, v24
	v_or_b32_e32 v27, 16, v24
	s_waitcnt lgkmcnt(0)
	s_load_dwordx2 s[6:7], s[6:7], 0x8
	s_waitcnt lgkmcnt(0)
	v_mad_u64_u32 v[1:2], null, s6, v26, 0
	v_mad_u64_u32 v[2:3], null, s7, v26, v[2:3]
	v_lshlrev_b64 v[1:2], 3, v[1:2]
	v_add_co_u32 v1, s0, s10, v1
	v_add_co_ci_u32_e64 v2, s0, s11, v2, s0
	v_add_co_u32 v1, s0, v1, v19
	v_add_co_ci_u32_e64 v2, s0, 0, v2, s0
	v_add3_u32 v19, 0, v0, v19
	s_clause 0x8
	global_load_dwordx2 v[3:4], v[1:2], off
	global_load_dwordx2 v[5:6], v[1:2], off offset:64
	global_load_dwordx2 v[7:8], v[1:2], off offset:128
	;; [unrolled: 1-line block ×8, first 2 shown]
	s_waitcnt vmcnt(7)
	ds_write2_b64 v19, v[3:4], v[5:6] offset1:8
	s_waitcnt vmcnt(5)
	ds_write2_b64 v19, v[7:8], v[9:10] offset0:16 offset1:24
	s_waitcnt vmcnt(3)
	ds_write2_b64 v19, v[11:12], v[13:14] offset0:32 offset1:40
	;; [unrolled: 2-line block ×3, first 2 shown]
	s_waitcnt vmcnt(0)
	ds_write_b64 v19, v[1:2] offset:512
.LBB0_4:
	s_or_b32 exec_lo, exec_lo, s1
	v_add_nc_u32_e32 v38, 0, v0
	v_lshlrev_b32_e32 v25, 3, v24
	s_waitcnt lgkmcnt(0)
	s_load_dwordx2 s[2:3], s[2:3], 0x8
	s_waitcnt lgkmcnt(0)
	s_barrier
	buffer_gl0_inv
	v_add_nc_u32_e32 v39, v38, v25
	v_add3_u32 v28, 0, v25, v0
	v_mov_b32_e32 v41, 3
	v_lshlrev_b32_e32 v40, 4, v27
	ds_read_b64 v[17:18], v39
	ds_read2_b64 v[1:4], v28 offset0:24 offset1:32
	ds_read2_b64 v[5:8], v28 offset0:40 offset1:48
	;; [unrolled: 1-line block ×4, first 2 shown]
	s_waitcnt lgkmcnt(0)
	s_barrier
	buffer_gl0_inv
	v_cmp_ne_u32_e64 s0, 0, v24
	v_cmp_eq_u32_e64 s1, 0, v24
	v_add_f32_e32 v19, v17, v1
	v_add_f32_e32 v20, v1, v7
	v_sub_f32_e32 v21, v2, v8
	v_add_f32_e32 v23, v2, v8
	v_sub_f32_e32 v30, v1, v7
	v_add_f32_e32 v32, v3, v13
	v_add_f32_e32 v1, v19, v7
	v_fma_f32 v17, -0.5, v20, v17
	v_add_f32_e32 v19, v6, v16
	v_add_f32_e32 v22, v18, v2
	;; [unrolled: 1-line block ×4, first 2 shown]
	v_fmac_f32_e32 v18, -0.5, v23
	v_fma_f32 v7, -0.5, v32, v9
	v_fmamk_f32 v9, v21, 0x3f5db3d7, v17
	v_fmac_f32_e32 v17, 0xbf5db3d7, v21
	v_add_f32_e32 v20, v11, v5
	v_sub_f32_e32 v21, v6, v16
	v_add_f32_e32 v6, v12, v6
	v_fmac_f32_e32 v12, -0.5, v19
	v_sub_f32_e32 v19, v5, v15
	v_add_f32_e32 v34, v10, v4
	v_add_f32_e32 v37, v5, v15
	;; [unrolled: 1-line block ×3, first 2 shown]
	v_fma_f32 v8, -0.5, v35, v10
	v_fmamk_f32 v10, v30, 0xbf5db3d7, v18
	v_add_f32_e32 v5, v20, v15
	v_add_f32_e32 v6, v6, v16
	v_fmamk_f32 v16, v19, 0xbf5db3d7, v12
	v_fmac_f32_e32 v12, 0x3f5db3d7, v19
	v_and_b32_e32 v19, 0xff, v24
	v_lshl_add_u32 v20, v24, 4, v28
	v_sub_f32_e32 v33, v4, v14
	v_sub_f32_e32 v36, v3, v13
	v_fmac_f32_e32 v18, 0x3f5db3d7, v30
	v_mul_lo_u16 v19, 0xab, v19
	ds_write2_b64 v20, v[1:2], v[9:10] offset1:1
	v_and_b32_e32 v1, 0xff, v29
	v_add_f32_e32 v3, v31, v13
	v_add_f32_e32 v4, v34, v14
	v_fmamk_f32 v13, v33, 0x3f5db3d7, v7
	v_fmamk_f32 v14, v36, 0xbf5db3d7, v8
	v_mad_i32_i24 v2, v29, 24, v38
	v_and_b32_e32 v9, 0xff, v27
	v_fma_f32 v11, -0.5, v37, v11
	ds_write_b64 v20, v[17:18] offset:16
	v_lshrrev_b16 v17, 9, v19
	v_mul_lo_u16 v1, 0xab, v1
	v_fmac_f32_e32 v7, 0xbf5db3d7, v33
	v_fmac_f32_e32 v8, 0x3f5db3d7, v36
	ds_write2_b64 v2, v[3:4], v[13:14] offset1:1
	v_mul_lo_u16 v4, 0xab, v9
	v_fmamk_f32 v15, v21, 0x3f5db3d7, v11
	v_mad_i32_i24 v23, v27, 24, v38
	v_mul_lo_u16 v3, v17, 3
	v_lshrrev_b16 v1, 9, v1
	ds_write_b64 v2, v[7:8] offset:16
	ds_write2_b64 v23, v[5:6], v[15:16] offset1:1
	v_lshrrev_b16 v15, 9, v4
	v_sub_nc_u16 v30, v24, v3
	v_mul_lo_u16 v3, v1, 3
	v_mov_b32_e32 v7, 4
	v_fmac_f32_e32 v11, 0xbf5db3d7, v21
	v_mul_lo_u16 v4, v15, 3
	v_and_b32_e32 v19, 0xffff, v17
	v_sub_nc_u16 v31, v29, v3
	v_lshlrev_b32_sdwa v3, v7, v30 dst_sel:DWORD dst_unused:UNUSED_PAD src0_sel:DWORD src1_sel:BYTE_0
	ds_write_b64 v23, v[11:12] offset:16
	v_sub_nc_u16 v36, v27, v4
	s_waitcnt lgkmcnt(0)
	v_lshlrev_b32_sdwa v8, v7, v31 dst_sel:DWORD dst_unused:UNUSED_PAD src0_sel:DWORD src1_sel:BYTE_0
	s_barrier
	buffer_gl0_inv
	v_lshlrev_b32_sdwa v11, v7, v36 dst_sel:DWORD dst_unused:UNUSED_PAD src0_sel:DWORD src1_sel:BYTE_0
	s_clause 0x2
	global_load_dwordx4 v[3:6], v3, s[8:9]
	global_load_dwordx4 v[7:10], v8, s[8:9]
	;; [unrolled: 1-line block ×3, first 2 shown]
	v_and_b32_e32 v32, 0xffff, v15
	ds_read2_b64 v[15:18], v28 offset0:24 offset1:32
	v_mad_u32_u24 v42, 0x48, v19, 0
	ds_read2_b64 v[19:22], v28 offset0:40 offset1:48
	v_and_b32_e32 v1, 0xffff, v1
	v_mad_u32_u24 v43, 0x48, v32, 0
	ds_read2_b64 v[32:35], v28 offset0:56 offset1:64
	v_lshlrev_b32_e32 v37, 4, v29
	v_lshlrev_b32_sdwa v30, v41, v30 dst_sel:DWORD dst_unused:UNUSED_PAD src0_sel:DWORD src1_sel:BYTE_0
	v_mad_u32_u24 v1, 0x48, v1, 0
	v_lshlrev_b32_sdwa v31, v41, v31 dst_sel:DWORD dst_unused:UNUSED_PAD src0_sel:DWORD src1_sel:BYTE_0
	v_lshlrev_b32_sdwa v36, v41, v36 dst_sel:DWORD dst_unused:UNUSED_PAD src0_sel:DWORD src1_sel:BYTE_0
	v_sub_nc_u32_e32 v2, v2, v37
	v_sub_nc_u32_e32 v23, v23, v40
	v_add3_u32 v40, v42, v30, v0
	v_add3_u32 v41, v1, v31, v0
	;; [unrolled: 1-line block ×3, first 2 shown]
	ds_read_b64 v[0:1], v39
	ds_read_b64 v[36:37], v2
	;; [unrolled: 1-line block ×3, first 2 shown]
	s_waitcnt vmcnt(0) lgkmcnt(0)
	s_barrier
	buffer_gl0_inv
	v_mul_f32_e32 v23, v4, v16
	v_mul_f32_e32 v4, v4, v15
	v_mul_f32_e32 v43, v6, v22
	v_mul_f32_e32 v6, v6, v21
	v_mul_f32_e32 v44, v8, v18
	v_mul_f32_e32 v8, v8, v17
	v_mul_f32_e32 v45, v10, v33
	v_mul_f32_e32 v10, v10, v32
	v_mul_f32_e32 v46, v12, v20
	v_mul_f32_e32 v12, v12, v19
	v_mul_f32_e32 v47, v35, v14
	v_mul_f32_e32 v14, v34, v14
	v_fma_f32 v15, v3, v15, -v23
	v_fmac_f32_e32 v4, v3, v16
	v_fma_f32 v3, v5, v21, -v43
	v_fmac_f32_e32 v6, v5, v22
	v_fma_f32 v5, v7, v17, -v44
	v_fmac_f32_e32 v8, v7, v18
	v_fma_f32 v7, v9, v32, -v45
	v_fmac_f32_e32 v10, v9, v33
	v_fma_f32 v9, v11, v19, -v46
	v_fmac_f32_e32 v12, v11, v20
	v_fma_f32 v11, v34, v13, -v47
	v_fmac_f32_e32 v14, v35, v13
	v_add_f32_e32 v16, v15, v3
	v_add_f32_e32 v19, v4, v6
	v_add_f32_e32 v21, v5, v7
	v_sub_f32_e32 v22, v8, v10
	v_add_f32_e32 v23, v37, v8
	v_add_f32_e32 v8, v8, v10
	v_add_f32_e32 v34, v9, v11
	v_sub_f32_e32 v35, v12, v14
	;; [unrolled: 4-line block ×3, first 2 shown]
	v_add_f32_e32 v18, v1, v4
	v_sub_f32_e32 v15, v15, v3
	v_fma_f32 v0, -0.5, v16, v0
	v_fmac_f32_e32 v1, -0.5, v19
	v_add_f32_e32 v20, v36, v5
	v_sub_f32_e32 v32, v5, v7
	v_add_f32_e32 v33, v30, v9
	v_fma_f32 v36, -0.5, v21, v36
	v_fmac_f32_e32 v37, -0.5, v8
	v_sub_f32_e32 v44, v9, v11
	v_fma_f32 v30, -0.5, v34, v30
	v_fmac_f32_e32 v31, -0.5, v12
	v_add_f32_e32 v3, v13, v3
	v_add_f32_e32 v4, v18, v6
	;; [unrolled: 1-line block ×3, first 2 shown]
	v_fmamk_f32 v9, v17, 0x3f5db3d7, v0
	v_fmamk_f32 v10, v15, 0xbf5db3d7, v1
	v_fmac_f32_e32 v0, 0xbf5db3d7, v17
	v_fmac_f32_e32 v1, 0x3f5db3d7, v15
	v_add_f32_e32 v5, v20, v7
	v_add_f32_e32 v7, v33, v11
	v_fmamk_f32 v11, v22, 0x3f5db3d7, v36
	v_fmamk_f32 v12, v32, 0xbf5db3d7, v37
	v_fmac_f32_e32 v36, 0xbf5db3d7, v22
	v_fmac_f32_e32 v37, 0x3f5db3d7, v32
	v_add_f32_e32 v8, v43, v14
	v_fmamk_f32 v13, v35, 0x3f5db3d7, v30
	v_fmamk_f32 v14, v44, 0xbf5db3d7, v31
	v_fmac_f32_e32 v30, 0xbf5db3d7, v35
	v_fmac_f32_e32 v31, 0x3f5db3d7, v44
	ds_write2_b64 v40, v[3:4], v[9:10] offset1:3
	ds_write_b64 v40, v[0:1] offset:48
	ds_write2_b64 v41, v[5:6], v[11:12] offset1:3
	ds_write_b64 v41, v[36:37] offset:48
	ds_write2_b64 v42, v[7:8], v[13:14] offset1:3
	ds_write_b64 v42, v[30:31] offset:48
	s_waitcnt lgkmcnt(0)
	s_barrier
	buffer_gl0_inv
	ds_read2_b64 v[20:23], v28 offset0:9 offset1:18
	ds_read2_b64 v[16:19], v28 offset0:27 offset1:36
	;; [unrolled: 1-line block ×3, first 2 shown]
	ds_read_b64 v[34:35], v39
	ds_read_b64 v[36:37], v28 offset:504
                                        ; implicit-def: $vgpr33
                                        ; implicit-def: $vgpr1
                                        ; implicit-def: $vgpr5
                                        ; implicit-def: $vgpr9
	s_and_saveexec_b32 s6, s1
	s_cbranch_execz .LBB0_6
; %bb.5:
	ds_read_b64 v[30:31], v2
	ds_read2_b32 v[32:33], v38 offset0:34 offset1:35
	ds_read2_b64 v[0:3], v38 offset0:26 offset1:35
	ds_read2_b64 v[4:7], v38 offset0:44 offset1:53
	;; [unrolled: 1-line block ×3, first 2 shown]
.LBB0_6:
	s_or_b32 exec_lo, exec_lo, s6
	v_mul_u32_u24_e32 v40, 7, v24
	v_lshlrev_b32_e32 v53, 3, v40
	s_clause 0x3
	global_load_dwordx4 v[41:44], v53, s[8:9] offset:48
	global_load_dwordx4 v[45:48], v53, s[8:9] offset:64
	;; [unrolled: 1-line block ×3, first 2 shown]
	global_load_dwordx2 v[53:54], v53, s[8:9] offset:96
	s_waitcnt vmcnt(0) lgkmcnt(0)
	s_barrier
	buffer_gl0_inv
	v_mul_f32_e32 v55, v42, v21
	v_mul_f32_e32 v42, v42, v20
	;; [unrolled: 1-line block ×14, first 2 shown]
	v_fma_f32 v20, v41, v20, -v55
	v_fmac_f32_e32 v42, v41, v21
	v_fma_f32 v21, v43, v22, -v56
	v_fmac_f32_e32 v44, v43, v23
	;; [unrolled: 2-line block ×7, first 2 shown]
	v_sub_f32_e32 v15, v34, v17
	v_sub_f32_e32 v17, v35, v48
	;; [unrolled: 1-line block ×8, first 2 shown]
	v_fma_f32 v23, v34, 2.0, -v15
	v_fma_f32 v34, v35, 2.0, -v17
	v_fma_f32 v21, v21, 2.0, -v13
	v_fma_f32 v35, v44, 2.0, -v18
	v_fma_f32 v20, v20, 2.0, -v12
	v_fma_f32 v36, v42, 2.0, -v19
	v_fma_f32 v16, v16, 2.0, -v14
	v_fma_f32 v37, v46, 2.0, -v22
	v_sub_f32_e32 v41, v15, v18
	v_add_f32_e32 v42, v17, v13
	v_sub_f32_e32 v18, v12, v22
	v_add_f32_e32 v22, v19, v14
	v_sub_f32_e32 v21, v23, v21
	v_sub_f32_e32 v35, v34, v35
	v_fma_f32 v43, v15, 2.0, -v41
	v_fma_f32 v44, v17, 2.0, -v42
	v_sub_f32_e32 v17, v20, v16
	v_sub_f32_e32 v16, v36, v37
	v_fma_f32 v37, v12, 2.0, -v18
	v_fma_f32 v45, v19, 2.0, -v22
	v_fmamk_f32 v12, v18, 0x3f3504f3, v41
	v_fmamk_f32 v13, v22, 0x3f3504f3, v42
	v_fma_f32 v46, v23, 2.0, -v21
	v_fma_f32 v47, v34, 2.0, -v35
	;; [unrolled: 1-line block ×4, first 2 shown]
	v_fmamk_f32 v14, v37, 0xbf3504f3, v43
	v_fmamk_f32 v15, v45, 0xbf3504f3, v44
	v_sub_f32_e32 v16, v21, v16
	v_add_f32_e32 v17, v35, v17
	v_fmac_f32_e32 v12, 0xbf3504f3, v22
	v_fmac_f32_e32 v13, 0x3f3504f3, v18
	v_sub_f32_e32 v18, v46, v19
	v_sub_f32_e32 v19, v47, v20
	v_fmac_f32_e32 v14, 0xbf3504f3, v45
	v_fmac_f32_e32 v15, 0x3f3504f3, v37
	v_fma_f32 v20, v21, 2.0, -v16
	v_fma_f32 v21, v35, 2.0, -v17
	;; [unrolled: 1-line block ×8, first 2 shown]
	ds_write2_b64 v28, v[20:21], v[22:23] offset0:18 offset1:27
	ds_write2_b64 v28, v[18:19], v[14:15] offset0:36 offset1:45
	ds_write2_b64 v28, v[34:35], v[36:37] offset1:9
	ds_write2_b64 v28, v[16:17], v[12:13] offset0:54 offset1:63
	s_and_saveexec_b32 s6, s1
	s_cbranch_execz .LBB0_8
; %bb.7:
	v_add_nc_u32_e32 v12, -7, v40
	v_mov_b32_e32 v13, 0
	v_cndmask_b32_e64 v12, v12, 56, s1
	v_lshlrev_b64 v[12:13], 3, v[12:13]
	v_add_co_u32 v34, s1, s8, v12
	v_add_co_ci_u32_e64 v35, s1, s9, v13, s1
	s_clause 0x3
	global_load_dwordx4 v[12:15], v[34:35], off offset:48
	global_load_dwordx4 v[16:19], v[34:35], off offset:80
	;; [unrolled: 1-line block ×3, first 2 shown]
	global_load_dwordx2 v[34:35], v[34:35], off offset:96
	s_waitcnt vmcnt(3)
	v_mul_f32_e32 v28, v1, v15
	s_waitcnt vmcnt(2)
	v_mul_f32_e32 v36, v9, v19
	;; [unrolled: 2-line block ×3, first 2 shown]
	v_mul_f32_e32 v40, v33, v13
	v_mul_f32_e32 v41, v7, v17
	v_mul_f32_e32 v42, v2, v21
	s_waitcnt vmcnt(0)
	v_mul_f32_e32 v43, v10, v35
	v_mul_f32_e32 v21, v3, v21
	;; [unrolled: 1-line block ×8, first 2 shown]
	v_fma_f32 v0, v0, v14, -v28
	v_fma_f32 v8, v8, v18, -v36
	v_fmac_f32_e32 v37, v5, v22
	v_fma_f32 v5, v32, v12, -v40
	v_fma_f32 v6, v6, v16, -v41
	v_fmac_f32_e32 v42, v3, v20
	v_fmac_f32_e32 v43, v11, v34
	v_fma_f32 v2, v2, v20, -v21
	v_fma_f32 v3, v10, v34, -v35
	v_fmac_f32_e32 v13, v33, v12
	v_fmac_f32_e32 v17, v7, v16
	v_fma_f32 v4, v4, v22, -v23
	v_fmac_f32_e32 v15, v1, v14
	v_fmac_f32_e32 v19, v9, v18
	v_sub_f32_e32 v1, v0, v8
	v_sub_f32_e32 v7, v31, v37
	v_sub_f32_e32 v6, v5, v6
	v_sub_f32_e32 v8, v42, v43
	v_sub_f32_e32 v3, v2, v3
	v_sub_f32_e32 v9, v13, v17
	v_sub_f32_e32 v4, v30, v4
	v_sub_f32_e32 v10, v15, v19
	v_add_f32_e32 v11, v7, v1
	v_sub_f32_e32 v12, v6, v8
	v_add_f32_e32 v14, v9, v3
	v_fma_f32 v17, v31, 2.0, -v7
	v_sub_f32_e32 v16, v4, v10
	v_fma_f32 v10, v15, 2.0, -v10
	v_fma_f32 v15, v5, 2.0, -v6
	;; [unrolled: 1-line block ×7, first 2 shown]
	v_fmamk_f32 v1, v14, 0x3f3504f3, v11
	v_fmamk_f32 v0, v12, 0x3f3504f3, v16
	v_sub_f32_e32 v8, v17, v10
	v_sub_f32_e32 v10, v15, v2
	;; [unrolled: 1-line block ×4, first 2 shown]
	v_fma_f32 v21, v7, 2.0, -v11
	v_fma_f32 v22, v6, 2.0, -v12
	;; [unrolled: 1-line block ×4, first 2 shown]
	v_fmac_f32_e32 v1, 0x3f3504f3, v12
	v_fmac_f32_e32 v0, 0xbf3504f3, v14
	v_add_f32_e32 v3, v8, v10
	v_fmamk_f32 v5, v23, 0xbf3504f3, v21
	v_fmamk_f32 v4, v22, 0xbf3504f3, v28
	v_fma_f32 v14, v17, 2.0, -v8
	v_fma_f32 v12, v13, 2.0, -v20
	;; [unrolled: 1-line block ×4, first 2 shown]
	v_sub_f32_e32 v2, v19, v20
	v_fma_f32 v7, v11, 2.0, -v1
	v_fmac_f32_e32 v5, 0x3f3504f3, v22
	v_fmac_f32_e32 v4, 0xbf3504f3, v23
	v_sub_f32_e32 v11, v14, v12
	v_sub_f32_e32 v10, v17, v10
	v_fma_f32 v6, v16, 2.0, -v0
	v_fma_f32 v9, v8, 2.0, -v3
	;; [unrolled: 1-line block ×7, first 2 shown]
	ds_write2_b64 v38, v[8:9], v[6:7] offset0:26 offset1:35
	ds_write2_b64 v38, v[10:11], v[4:5] offset0:44 offset1:53
	;; [unrolled: 1-line block ×4, first 2 shown]
.LBB0_8:
	s_or_b32 exec_lo, exec_lo, s6
	s_waitcnt lgkmcnt(0)
	s_barrier
	buffer_gl0_inv
	ds_read_b64 v[4:5], v39
	v_sub_nc_u32_e32 v6, v38, v25
                                        ; implicit-def: $vgpr1
                                        ; implicit-def: $vgpr7
                                        ; implicit-def: $vgpr2_vgpr3
	s_and_saveexec_b32 s1, s0
	s_xor_b32 s1, exec_lo, s1
	s_cbranch_execz .LBB0_10
; %bb.9:
	v_mov_b32_e32 v25, 0
	ds_read_b64 v[7:8], v6 offset:576
	v_lshlrev_b64 v[0:1], 3, v[24:25]
	v_add_co_u32 v0, s0, s8, v0
	v_add_co_ci_u32_e64 v1, s0, s9, v1, s0
	global_load_dwordx2 v[1:2], v[0:1], off offset:552
	s_waitcnt lgkmcnt(0)
	v_sub_f32_e32 v0, v4, v7
	v_add_f32_e32 v3, v8, v5
	v_sub_f32_e32 v5, v5, v8
	v_mul_f32_e32 v8, 0.5, v0
	v_add_f32_e32 v0, v7, v4
	v_mul_f32_e32 v4, 0.5, v5
	v_mul_f32_e32 v3, 0.5, v3
	s_waitcnt vmcnt(0)
	v_mul_f32_e32 v5, v2, v8
	v_fma_f32 v7, v3, v2, v4
	v_fma_f32 v2, v3, v2, -v4
	v_fma_f32 v9, 0.5, v0, v5
	v_fma_f32 v0, v0, 0.5, -v5
	v_fma_f32 v7, -v1, v8, v7
                                        ; implicit-def: $vgpr4_vgpr5
	v_fmac_f32_e32 v9, v1, v3
	v_fma_f32 v0, -v1, v3, v0
	v_fma_f32 v1, -v1, v8, v2
	v_mov_b32_e32 v2, v24
	v_mov_b32_e32 v3, v25
	ds_write_b32 v39, v9
.LBB0_10:
	s_andn2_saveexec_b32 s0, s1
	s_cbranch_execz .LBB0_12
; %bb.11:
	ds_read_b32 v1, v38 offset:292
	v_mov_b32_e32 v7, 0
	v_mov_b32_e32 v2, 0
	s_waitcnt lgkmcnt(1)
	v_add_f32_e32 v8, v4, v5
	v_sub_f32_e32 v0, v4, v5
	v_mov_b32_e32 v3, 0
	s_waitcnt lgkmcnt(0)
	v_xor_b32_e32 v4, 0x80000000, v1
	v_mov_b32_e32 v1, v7
	ds_write_b32 v39, v8
	ds_write_b32 v38, v4 offset:292
.LBB0_12:
	s_or_b32 exec_lo, exec_lo, s0
	v_mov_b32_e32 v30, 0
	v_lshlrev_b64 v[2:3], 3, v[2:3]
	v_lshl_add_u32 v14, v29, 3, v38
	s_waitcnt lgkmcnt(0)
	v_lshlrev_b64 v[4:5], 3, v[29:30]
	v_mov_b32_e32 v28, v30
	v_lshlrev_b64 v[8:9], 3, v[27:28]
	v_add_co_u32 v4, s0, s8, v4
	v_add_co_ci_u32_e64 v5, s0, s9, v5, s0
	v_add_co_u32 v8, s0, s8, v8
	global_load_dwordx2 v[4:5], v[4:5], off offset:552
	v_add_co_ci_u32_e64 v9, s0, s9, v9, s0
	s_add_u32 s0, s8, 0x228
	s_addc_u32 s1, s9, 0
	v_add_co_u32 v2, s0, s0, v2
	global_load_dwordx2 v[8:9], v[8:9], off offset:552
	v_add_co_ci_u32_e64 v3, s0, s1, v3, s0
	s_mov_b32 s1, exec_lo
	global_load_dwordx2 v[10:11], v[2:3], off offset:192
	ds_write_b32 v39, v7 offset:4
	ds_write_b64 v6, v[0:1] offset:576
	ds_read_b64 v[0:1], v6 offset:512
	ds_read_b64 v[12:13], v14
	s_waitcnt lgkmcnt(0)
	v_sub_f32_e32 v7, v12, v0
	v_add_f32_e32 v15, v13, v1
	v_sub_f32_e32 v1, v13, v1
	v_add_f32_e32 v12, v12, v0
	v_mul_f32_e32 v7, 0.5, v7
	v_mul_f32_e32 v13, 0.5, v15
	;; [unrolled: 1-line block ×3, first 2 shown]
	s_waitcnt vmcnt(2)
	v_mul_f32_e32 v15, v5, v7
	v_fma_f32 v16, v13, v5, v1
	v_fma_f32 v5, v13, v5, -v1
	v_fma_f32 v0, 0.5, v12, v15
	v_fma_f32 v12, v12, 0.5, -v15
	v_fma_f32 v1, -v4, v7, v16
	v_fma_f32 v5, -v4, v7, v5
	v_lshl_add_u32 v7, v27, 3, v38
	v_fmac_f32_e32 v0, v4, v13
	v_fma_f32 v4, -v4, v13, v12
	ds_write_b64 v14, v[0:1]
	ds_write_b64 v6, v[4:5] offset:512
	ds_read_b64 v[0:1], v7
	ds_read_b64 v[4:5], v6 offset:448
	s_waitcnt lgkmcnt(0)
	v_sub_f32_e32 v12, v0, v4
	v_add_f32_e32 v13, v1, v5
	v_sub_f32_e32 v1, v1, v5
	v_add_f32_e32 v4, v0, v4
	v_mul_f32_e32 v5, 0.5, v12
	v_mul_f32_e32 v12, 0.5, v13
	;; [unrolled: 1-line block ×3, first 2 shown]
	s_waitcnt vmcnt(1)
	v_mul_f32_e32 v13, v9, v5
	v_fma_f32 v14, v12, v9, v1
	v_fma_f32 v9, v12, v9, -v1
	v_fma_f32 v0, 0.5, v4, v13
	v_fma_f32 v4, v4, 0.5, -v13
	v_fma_f32 v1, -v8, v5, v14
	v_fma_f32 v5, -v8, v5, v9
	v_fmac_f32_e32 v0, v8, v12
	v_fma_f32 v4, -v8, v12, v4
	ds_write_b64 v7, v[0:1]
	ds_write_b64 v6, v[4:5] offset:448
	ds_read_b64 v[0:1], v39 offset:192
	ds_read_b64 v[4:5], v6 offset:384
	s_waitcnt lgkmcnt(0)
	v_sub_f32_e32 v7, v0, v4
	v_add_f32_e32 v8, v1, v5
	v_sub_f32_e32 v1, v1, v5
	v_add_f32_e32 v4, v0, v4
	v_mul_f32_e32 v5, 0.5, v7
	v_mul_f32_e32 v7, 0.5, v8
	;; [unrolled: 1-line block ×3, first 2 shown]
	s_waitcnt vmcnt(0)
	v_mul_f32_e32 v8, v11, v5
	v_fma_f32 v9, v7, v11, v1
	v_fma_f32 v11, v7, v11, -v1
	v_fma_f32 v0, 0.5, v4, v8
	v_fma_f32 v4, v4, 0.5, -v8
	v_or_b32_e32 v8, 32, v24
	v_fma_f32 v1, -v10, v5, v9
	v_fma_f32 v5, -v10, v5, v11
	v_fmac_f32_e32 v0, v10, v7
	v_fma_f32 v4, -v10, v7, v4
	ds_write_b64 v39, v[0:1] offset:192
	ds_write_b64 v6, v[4:5] offset:384
	v_cmpx_gt_u32_e32 36, v8
	s_cbranch_execz .LBB0_14
; %bb.13:
	global_load_dwordx2 v[0:1], v[2:3], off offset:256
	ds_read_b64 v[2:3], v39 offset:256
	ds_read_b64 v[4:5], v6 offset:320
	s_waitcnt lgkmcnt(0)
	v_sub_f32_e32 v7, v2, v4
	v_add_f32_e32 v8, v3, v5
	v_sub_f32_e32 v3, v3, v5
	v_add_f32_e32 v2, v2, v4
	v_mul_f32_e32 v5, 0.5, v7
	v_mul_f32_e32 v7, 0.5, v8
	;; [unrolled: 1-line block ×3, first 2 shown]
	s_waitcnt vmcnt(0)
	v_mul_f32_e32 v4, v1, v5
	v_fma_f32 v8, v7, v1, v3
	v_fma_f32 v3, v7, v1, -v3
	v_fma_f32 v1, 0.5, v2, v4
	v_fma_f32 v9, v2, 0.5, -v4
	v_fma_f32 v2, -v0, v5, v8
	v_fma_f32 v4, -v0, v5, v3
	v_fmac_f32_e32 v1, v0, v7
	v_fma_f32 v3, -v0, v7, v9
	ds_write_b64 v39, v[1:2] offset:256
	ds_write_b64 v6, v[3:4] offset:320
.LBB0_14:
	s_or_b32 exec_lo, exec_lo, s1
	s_waitcnt lgkmcnt(0)
	s_barrier
	buffer_gl0_inv
	s_and_saveexec_b32 s0, vcc_lo
	s_cbranch_execz .LBB0_17
; %bb.15:
	v_mad_u64_u32 v[0:1], null, s2, v26, 0
	v_lshl_add_u32 v2, v24, 3, v38
	s_load_dwordx2 s[0:1], s[4:5], 0x58
	v_mov_b32_e32 v25, 0
	v_add_nc_u32_e32 v15, 8, v24
	v_add_nc_u32_e32 v17, 16, v24
	ds_read2_b64 v[3:6], v2 offset1:8
	v_mad_u64_u32 v[7:8], null, s3, v26, v[1:2]
	v_mov_b32_e32 v16, v25
	v_lshlrev_b64 v[26:27], 3, v[24:25]
	v_mov_b32_e32 v18, v25
	v_add_nc_u32_e32 v19, 24, v24
	v_mov_b32_e32 v20, v25
	v_lshlrev_b64 v[15:16], 3, v[15:16]
	v_mov_b32_e32 v1, v7
	ds_read2_b64 v[7:10], v2 offset0:16 offset1:24
	v_lshlrev_b64 v[17:18], 3, v[17:18]
	v_add_nc_u32_e32 v21, 32, v24
	v_mov_b32_e32 v22, v25
	v_lshlrev_b64 v[0:1], 3, v[0:1]
	ds_read2_b64 v[11:14], v2 offset0:32 offset1:40
	v_lshlrev_b64 v[19:20], 3, v[19:20]
	v_lshlrev_b64 v[21:22], 3, v[21:22]
	s_waitcnt lgkmcnt(0)
	v_add_co_u32 v0, vcc_lo, s0, v0
	v_add_co_ci_u32_e32 v1, vcc_lo, s1, v1, vcc_lo
	v_add_co_u32 v26, vcc_lo, v0, v26
	v_add_co_ci_u32_e32 v27, vcc_lo, v1, v27, vcc_lo
	;; [unrolled: 2-line block ×4, first 2 shown]
	global_store_dwordx2 v[26:27], v[3:4], off
	v_add_co_u32 v3, vcc_lo, v0, v19
	v_add_co_ci_u32_e32 v4, vcc_lo, v1, v20, vcc_lo
	v_add_co_u32 v19, vcc_lo, v0, v21
	v_add_co_ci_u32_e32 v20, vcc_lo, v1, v22, vcc_lo
	v_add_nc_u32_e32 v21, 40, v24
	v_mov_b32_e32 v22, v25
	global_store_dwordx2 v[15:16], v[5:6], off
	global_store_dwordx2 v[17:18], v[7:8], off
	;; [unrolled: 1-line block ×4, first 2 shown]
	v_add_nc_u32_e32 v7, 48, v24
	v_mov_b32_e32 v8, v25
	v_add_nc_u32_e32 v9, 56, v24
	v_lshlrev_b64 v[3:4], 3, v[21:22]
	v_mov_b32_e32 v10, v25
	v_add_nc_u32_e32 v17, 64, v24
	v_lshlrev_b64 v[7:8], 3, v[7:8]
	v_mov_b32_e32 v18, v25
	ds_read_b64 v[15:16], v2 offset:512
	v_add_co_u32 v11, vcc_lo, v0, v3
	v_add_co_ci_u32_e32 v12, vcc_lo, v1, v4, vcc_lo
	ds_read2_b64 v[3:6], v2 offset0:48 offset1:56
	v_lshlrev_b64 v[9:10], 3, v[9:10]
	v_add_co_u32 v7, vcc_lo, v0, v7
	v_lshlrev_b64 v[17:18], 3, v[17:18]
	v_add_co_ci_u32_e32 v8, vcc_lo, v1, v8, vcc_lo
	v_add_co_u32 v9, vcc_lo, v0, v9
	v_add_co_ci_u32_e32 v10, vcc_lo, v1, v10, vcc_lo
	v_add_co_u32 v17, vcc_lo, v0, v17
	v_add_co_ci_u32_e32 v18, vcc_lo, v1, v18, vcc_lo
	v_cmp_eq_u32_e32 vcc_lo, 7, v24
	global_store_dwordx2 v[11:12], v[13:14], off
	s_waitcnt lgkmcnt(0)
	global_store_dwordx2 v[7:8], v[3:4], off
	global_store_dwordx2 v[9:10], v[5:6], off
	global_store_dwordx2 v[17:18], v[15:16], off
	s_and_b32 exec_lo, exec_lo, vcc_lo
	s_cbranch_execz .LBB0_17
; %bb.16:
	ds_read_b64 v[2:3], v2 offset:520
	s_waitcnt lgkmcnt(0)
	global_store_dwordx2 v[0:1], v[2:3], off offset:576
.LBB0_17:
	s_endpgm
	.section	.rodata,"a",@progbits
	.p2align	6, 0x0
	.amdhsa_kernel fft_rtc_fwd_len72_factors_3_3_8_wgs_64_tpt_8_halfLds_dim1_sp_op_CI_CI_unitstride_sbrr_R2C_dirReg
		.amdhsa_group_segment_fixed_size 0
		.amdhsa_private_segment_fixed_size 0
		.amdhsa_kernarg_size 96
		.amdhsa_user_sgpr_count 6
		.amdhsa_user_sgpr_private_segment_buffer 1
		.amdhsa_user_sgpr_dispatch_ptr 0
		.amdhsa_user_sgpr_queue_ptr 0
		.amdhsa_user_sgpr_kernarg_segment_ptr 1
		.amdhsa_user_sgpr_dispatch_id 0
		.amdhsa_user_sgpr_flat_scratch_init 0
		.amdhsa_user_sgpr_private_segment_size 0
		.amdhsa_wavefront_size32 1
		.amdhsa_uses_dynamic_stack 0
		.amdhsa_system_sgpr_private_segment_wavefront_offset 0
		.amdhsa_system_sgpr_workgroup_id_x 1
		.amdhsa_system_sgpr_workgroup_id_y 0
		.amdhsa_system_sgpr_workgroup_id_z 0
		.amdhsa_system_sgpr_workgroup_info 0
		.amdhsa_system_vgpr_workitem_id 0
		.amdhsa_next_free_vgpr 62
		.amdhsa_next_free_sgpr 12
		.amdhsa_reserve_vcc 1
		.amdhsa_reserve_flat_scratch 0
		.amdhsa_float_round_mode_32 0
		.amdhsa_float_round_mode_16_64 0
		.amdhsa_float_denorm_mode_32 3
		.amdhsa_float_denorm_mode_16_64 3
		.amdhsa_dx10_clamp 1
		.amdhsa_ieee_mode 1
		.amdhsa_fp16_overflow 0
		.amdhsa_workgroup_processor_mode 1
		.amdhsa_memory_ordered 1
		.amdhsa_forward_progress 0
		.amdhsa_shared_vgpr_count 0
		.amdhsa_exception_fp_ieee_invalid_op 0
		.amdhsa_exception_fp_denorm_src 0
		.amdhsa_exception_fp_ieee_div_zero 0
		.amdhsa_exception_fp_ieee_overflow 0
		.amdhsa_exception_fp_ieee_underflow 0
		.amdhsa_exception_fp_ieee_inexact 0
		.amdhsa_exception_int_div_zero 0
	.end_amdhsa_kernel
	.text
.Lfunc_end0:
	.size	fft_rtc_fwd_len72_factors_3_3_8_wgs_64_tpt_8_halfLds_dim1_sp_op_CI_CI_unitstride_sbrr_R2C_dirReg, .Lfunc_end0-fft_rtc_fwd_len72_factors_3_3_8_wgs_64_tpt_8_halfLds_dim1_sp_op_CI_CI_unitstride_sbrr_R2C_dirReg
                                        ; -- End function
	.section	.AMDGPU.csdata,"",@progbits
; Kernel info:
; codeLenInByte = 4332
; NumSgprs: 14
; NumVgprs: 62
; ScratchSize: 0
; MemoryBound: 0
; FloatMode: 240
; IeeeMode: 1
; LDSByteSize: 0 bytes/workgroup (compile time only)
; SGPRBlocks: 1
; VGPRBlocks: 7
; NumSGPRsForWavesPerEU: 14
; NumVGPRsForWavesPerEU: 62
; Occupancy: 16
; WaveLimiterHint : 1
; COMPUTE_PGM_RSRC2:SCRATCH_EN: 0
; COMPUTE_PGM_RSRC2:USER_SGPR: 6
; COMPUTE_PGM_RSRC2:TRAP_HANDLER: 0
; COMPUTE_PGM_RSRC2:TGID_X_EN: 1
; COMPUTE_PGM_RSRC2:TGID_Y_EN: 0
; COMPUTE_PGM_RSRC2:TGID_Z_EN: 0
; COMPUTE_PGM_RSRC2:TIDIG_COMP_CNT: 0
	.text
	.p2alignl 6, 3214868480
	.fill 48, 4, 3214868480
	.type	__hip_cuid_67e71a2da36d0fbb,@object ; @__hip_cuid_67e71a2da36d0fbb
	.section	.bss,"aw",@nobits
	.globl	__hip_cuid_67e71a2da36d0fbb
__hip_cuid_67e71a2da36d0fbb:
	.byte	0                               ; 0x0
	.size	__hip_cuid_67e71a2da36d0fbb, 1

	.ident	"AMD clang version 19.0.0git (https://github.com/RadeonOpenCompute/llvm-project roc-6.4.0 25133 c7fe45cf4b819c5991fe208aaa96edf142730f1d)"
	.section	".note.GNU-stack","",@progbits
	.addrsig
	.addrsig_sym __hip_cuid_67e71a2da36d0fbb
	.amdgpu_metadata
---
amdhsa.kernels:
  - .args:
      - .actual_access:  read_only
        .address_space:  global
        .offset:         0
        .size:           8
        .value_kind:     global_buffer
      - .actual_access:  read_only
        .address_space:  global
        .offset:         8
        .size:           8
        .value_kind:     global_buffer
      - .actual_access:  read_only
        .address_space:  global
        .offset:         16
        .size:           8
        .value_kind:     global_buffer
      - .actual_access:  read_only
        .address_space:  global
        .offset:         24
        .size:           8
        .value_kind:     global_buffer
      - .offset:         32
        .size:           8
        .value_kind:     by_value
      - .actual_access:  read_only
        .address_space:  global
        .offset:         40
        .size:           8
        .value_kind:     global_buffer
      - .actual_access:  read_only
        .address_space:  global
        .offset:         48
        .size:           8
        .value_kind:     global_buffer
      - .offset:         56
        .size:           4
        .value_kind:     by_value
      - .actual_access:  read_only
        .address_space:  global
        .offset:         64
        .size:           8
        .value_kind:     global_buffer
      - .actual_access:  read_only
        .address_space:  global
        .offset:         72
        .size:           8
        .value_kind:     global_buffer
      - .actual_access:  read_only
        .address_space:  global
        .offset:         80
        .size:           8
        .value_kind:     global_buffer
      - .actual_access:  write_only
        .address_space:  global
        .offset:         88
        .size:           8
        .value_kind:     global_buffer
    .group_segment_fixed_size: 0
    .kernarg_segment_align: 8
    .kernarg_segment_size: 96
    .language:       OpenCL C
    .language_version:
      - 2
      - 0
    .max_flat_workgroup_size: 64
    .name:           fft_rtc_fwd_len72_factors_3_3_8_wgs_64_tpt_8_halfLds_dim1_sp_op_CI_CI_unitstride_sbrr_R2C_dirReg
    .private_segment_fixed_size: 0
    .sgpr_count:     14
    .sgpr_spill_count: 0
    .symbol:         fft_rtc_fwd_len72_factors_3_3_8_wgs_64_tpt_8_halfLds_dim1_sp_op_CI_CI_unitstride_sbrr_R2C_dirReg.kd
    .uniform_work_group_size: 1
    .uses_dynamic_stack: false
    .vgpr_count:     62
    .vgpr_spill_count: 0
    .wavefront_size: 32
    .workgroup_processor_mode: 1
amdhsa.target:   amdgcn-amd-amdhsa--gfx1030
amdhsa.version:
  - 1
  - 2
...

	.end_amdgpu_metadata
